;; amdgpu-corpus repo=ROCm/rocFFT kind=compiled arch=gfx906 opt=O3
	.text
	.amdgcn_target "amdgcn-amd-amdhsa--gfx906"
	.amdhsa_code_object_version 6
	.protected	fft_rtc_fwd_len3888_factors_16_3_3_3_3_3_wgs_324_tpt_324_halfLds_sp_op_CI_CI_sbrr_dirReg ; -- Begin function fft_rtc_fwd_len3888_factors_16_3_3_3_3_3_wgs_324_tpt_324_halfLds_sp_op_CI_CI_sbrr_dirReg
	.globl	fft_rtc_fwd_len3888_factors_16_3_3_3_3_3_wgs_324_tpt_324_halfLds_sp_op_CI_CI_sbrr_dirReg
	.p2align	8
	.type	fft_rtc_fwd_len3888_factors_16_3_3_3_3_3_wgs_324_tpt_324_halfLds_sp_op_CI_CI_sbrr_dirReg,@function
fft_rtc_fwd_len3888_factors_16_3_3_3_3_3_wgs_324_tpt_324_halfLds_sp_op_CI_CI_sbrr_dirReg: ; @fft_rtc_fwd_len3888_factors_16_3_3_3_3_3_wgs_324_tpt_324_halfLds_sp_op_CI_CI_sbrr_dirReg
; %bb.0:
	s_load_dwordx4 s[16:19], s[4:5], 0x18
	s_load_dwordx4 s[12:15], s[4:5], 0x0
	;; [unrolled: 1-line block ×3, first 2 shown]
	v_mul_u32_u24_e32 v1, 0x195, v0
	v_lshrrev_b32_e32 v1, 17, v1
	s_waitcnt lgkmcnt(0)
	s_load_dwordx2 s[22:23], s[16:17], 0x0
	s_load_dwordx2 s[20:21], s[18:19], 0x0
	v_cmp_lt_u64_e64 s[0:1], s[14:15], 2
	v_mov_b32_e32 v7, 0
	v_mov_b32_e32 v5, 0
	v_add_u32_e32 v9, s6, v1
	v_mov_b32_e32 v10, v7
	s_and_b64 vcc, exec, s[0:1]
	v_mov_b32_e32 v6, 0
	s_cbranch_vccnz .LBB0_8
; %bb.1:
	s_load_dwordx2 s[0:1], s[4:5], 0x10
	s_add_u32 s2, s18, 8
	s_addc_u32 s3, s19, 0
	s_add_u32 s6, s16, 8
	s_addc_u32 s7, s17, 0
	v_mov_b32_e32 v5, 0
	s_waitcnt lgkmcnt(0)
	s_add_u32 s24, s0, 8
	v_mov_b32_e32 v6, 0
	v_mov_b32_e32 v1, v5
	s_addc_u32 s25, s1, 0
	s_mov_b64 s[26:27], 1
	v_mov_b32_e32 v2, v6
.LBB0_2:                                ; =>This Inner Loop Header: Depth=1
	s_load_dwordx2 s[28:29], s[24:25], 0x0
                                        ; implicit-def: $vgpr3_vgpr4
	s_waitcnt lgkmcnt(0)
	v_or_b32_e32 v8, s29, v10
	v_cmp_ne_u64_e32 vcc, 0, v[7:8]
	s_and_saveexec_b64 s[0:1], vcc
	s_xor_b64 s[30:31], exec, s[0:1]
	s_cbranch_execz .LBB0_4
; %bb.3:                                ;   in Loop: Header=BB0_2 Depth=1
	v_cvt_f32_u32_e32 v3, s28
	v_cvt_f32_u32_e32 v4, s29
	s_sub_u32 s0, 0, s28
	s_subb_u32 s1, 0, s29
	v_mac_f32_e32 v3, 0x4f800000, v4
	v_rcp_f32_e32 v3, v3
	v_mul_f32_e32 v3, 0x5f7ffffc, v3
	v_mul_f32_e32 v4, 0x2f800000, v3
	v_trunc_f32_e32 v4, v4
	v_mac_f32_e32 v3, 0xcf800000, v4
	v_cvt_u32_f32_e32 v4, v4
	v_cvt_u32_f32_e32 v3, v3
	v_mul_lo_u32 v8, s0, v4
	v_mul_hi_u32 v11, s0, v3
	v_mul_lo_u32 v13, s1, v3
	v_mul_lo_u32 v12, s0, v3
	v_add_u32_e32 v8, v11, v8
	v_add_u32_e32 v8, v8, v13
	v_mul_hi_u32 v11, v3, v12
	v_mul_lo_u32 v13, v3, v8
	v_mul_hi_u32 v15, v3, v8
	v_mul_hi_u32 v14, v4, v12
	v_mul_lo_u32 v12, v4, v12
	v_mul_hi_u32 v16, v4, v8
	v_add_co_u32_e32 v11, vcc, v11, v13
	v_addc_co_u32_e32 v13, vcc, 0, v15, vcc
	v_mul_lo_u32 v8, v4, v8
	v_add_co_u32_e32 v11, vcc, v11, v12
	v_addc_co_u32_e32 v11, vcc, v13, v14, vcc
	v_addc_co_u32_e32 v12, vcc, 0, v16, vcc
	v_add_co_u32_e32 v8, vcc, v11, v8
	v_addc_co_u32_e32 v11, vcc, 0, v12, vcc
	v_add_co_u32_e32 v3, vcc, v3, v8
	v_addc_co_u32_e32 v4, vcc, v4, v11, vcc
	v_mul_lo_u32 v8, s0, v4
	v_mul_hi_u32 v11, s0, v3
	v_mul_lo_u32 v12, s1, v3
	v_mul_lo_u32 v13, s0, v3
	v_add_u32_e32 v8, v11, v8
	v_add_u32_e32 v8, v8, v12
	v_mul_lo_u32 v14, v3, v8
	v_mul_hi_u32 v15, v3, v13
	v_mul_hi_u32 v16, v3, v8
	;; [unrolled: 1-line block ×3, first 2 shown]
	v_mul_lo_u32 v13, v4, v13
	v_mul_hi_u32 v11, v4, v8
	v_add_co_u32_e32 v14, vcc, v15, v14
	v_addc_co_u32_e32 v15, vcc, 0, v16, vcc
	v_mul_lo_u32 v8, v4, v8
	v_add_co_u32_e32 v13, vcc, v14, v13
	v_addc_co_u32_e32 v12, vcc, v15, v12, vcc
	v_addc_co_u32_e32 v11, vcc, 0, v11, vcc
	v_add_co_u32_e32 v8, vcc, v12, v8
	v_addc_co_u32_e32 v11, vcc, 0, v11, vcc
	v_add_co_u32_e32 v8, vcc, v3, v8
	v_addc_co_u32_e32 v11, vcc, v4, v11, vcc
	v_mad_u64_u32 v[3:4], s[0:1], v9, v11, 0
	v_mul_hi_u32 v12, v9, v8
	v_add_co_u32_e32 v13, vcc, v12, v3
	v_addc_co_u32_e32 v14, vcc, 0, v4, vcc
	v_mad_u64_u32 v[3:4], s[0:1], v10, v8, 0
	v_mad_u64_u32 v[11:12], s[0:1], v10, v11, 0
	v_add_co_u32_e32 v3, vcc, v13, v3
	v_addc_co_u32_e32 v3, vcc, v14, v4, vcc
	v_addc_co_u32_e32 v4, vcc, 0, v12, vcc
	v_add_co_u32_e32 v8, vcc, v3, v11
	v_addc_co_u32_e32 v11, vcc, 0, v4, vcc
	v_mul_lo_u32 v12, s29, v8
	v_mul_lo_u32 v13, s28, v11
	v_mad_u64_u32 v[3:4], s[0:1], s28, v8, 0
	v_add3_u32 v4, v4, v13, v12
	v_sub_u32_e32 v12, v10, v4
	v_mov_b32_e32 v13, s29
	v_sub_co_u32_e32 v3, vcc, v9, v3
	v_subb_co_u32_e64 v12, s[0:1], v12, v13, vcc
	v_subrev_co_u32_e64 v13, s[0:1], s28, v3
	v_subbrev_co_u32_e64 v12, s[0:1], 0, v12, s[0:1]
	v_cmp_le_u32_e64 s[0:1], s29, v12
	v_cndmask_b32_e64 v14, 0, -1, s[0:1]
	v_cmp_le_u32_e64 s[0:1], s28, v13
	v_cndmask_b32_e64 v13, 0, -1, s[0:1]
	v_cmp_eq_u32_e64 s[0:1], s29, v12
	v_cndmask_b32_e64 v12, v14, v13, s[0:1]
	v_add_co_u32_e64 v13, s[0:1], 2, v8
	v_addc_co_u32_e64 v14, s[0:1], 0, v11, s[0:1]
	v_add_co_u32_e64 v15, s[0:1], 1, v8
	v_addc_co_u32_e64 v16, s[0:1], 0, v11, s[0:1]
	v_subb_co_u32_e32 v4, vcc, v10, v4, vcc
	v_cmp_ne_u32_e64 s[0:1], 0, v12
	v_cmp_le_u32_e32 vcc, s29, v4
	v_cndmask_b32_e64 v12, v16, v14, s[0:1]
	v_cndmask_b32_e64 v14, 0, -1, vcc
	v_cmp_le_u32_e32 vcc, s28, v3
	v_cndmask_b32_e64 v3, 0, -1, vcc
	v_cmp_eq_u32_e32 vcc, s29, v4
	v_cndmask_b32_e32 v3, v14, v3, vcc
	v_cmp_ne_u32_e32 vcc, 0, v3
	v_cndmask_b32_e64 v3, v15, v13, s[0:1]
	v_cndmask_b32_e32 v4, v11, v12, vcc
	v_cndmask_b32_e32 v3, v8, v3, vcc
.LBB0_4:                                ;   in Loop: Header=BB0_2 Depth=1
	s_andn2_saveexec_b64 s[0:1], s[30:31]
	s_cbranch_execz .LBB0_6
; %bb.5:                                ;   in Loop: Header=BB0_2 Depth=1
	v_cvt_f32_u32_e32 v3, s28
	s_sub_i32 s30, 0, s28
	v_rcp_iflag_f32_e32 v3, v3
	v_mul_f32_e32 v3, 0x4f7ffffe, v3
	v_cvt_u32_f32_e32 v3, v3
	v_mul_lo_u32 v4, s30, v3
	v_mul_hi_u32 v4, v3, v4
	v_add_u32_e32 v3, v3, v4
	v_mul_hi_u32 v3, v9, v3
	v_mul_lo_u32 v4, v3, s28
	v_add_u32_e32 v8, 1, v3
	v_sub_u32_e32 v4, v9, v4
	v_subrev_u32_e32 v11, s28, v4
	v_cmp_le_u32_e32 vcc, s28, v4
	v_cndmask_b32_e32 v4, v4, v11, vcc
	v_cndmask_b32_e32 v3, v3, v8, vcc
	v_add_u32_e32 v8, 1, v3
	v_cmp_le_u32_e32 vcc, s28, v4
	v_cndmask_b32_e32 v3, v3, v8, vcc
	v_mov_b32_e32 v4, v7
.LBB0_6:                                ;   in Loop: Header=BB0_2 Depth=1
	s_or_b64 exec, exec, s[0:1]
	v_mul_lo_u32 v8, v4, s28
	v_mul_lo_u32 v13, v3, s29
	v_mad_u64_u32 v[11:12], s[0:1], v3, s28, 0
	s_load_dwordx2 s[0:1], s[6:7], 0x0
	s_load_dwordx2 s[28:29], s[2:3], 0x0
	v_add3_u32 v8, v12, v13, v8
	v_sub_co_u32_e32 v9, vcc, v9, v11
	v_subb_co_u32_e32 v8, vcc, v10, v8, vcc
	s_waitcnt lgkmcnt(0)
	v_mul_lo_u32 v10, s0, v8
	v_mul_lo_u32 v11, s1, v9
	v_mad_u64_u32 v[5:6], s[0:1], s0, v9, v[5:6]
	v_mul_lo_u32 v8, s28, v8
	v_mul_lo_u32 v12, s29, v9
	v_mad_u64_u32 v[1:2], s[0:1], s28, v9, v[1:2]
	s_add_u32 s26, s26, 1
	s_addc_u32 s27, s27, 0
	s_add_u32 s2, s2, 8
	v_add3_u32 v2, v12, v2, v8
	s_addc_u32 s3, s3, 0
	v_mov_b32_e32 v8, s14
	s_add_u32 s6, s6, 8
	v_mov_b32_e32 v9, s15
	s_addc_u32 s7, s7, 0
	v_cmp_ge_u64_e32 vcc, s[26:27], v[8:9]
	s_add_u32 s24, s24, 8
	v_add3_u32 v6, v11, v6, v10
	s_addc_u32 s25, s25, 0
	s_cbranch_vccnz .LBB0_9
; %bb.7:                                ;   in Loop: Header=BB0_2 Depth=1
	v_mov_b32_e32 v10, v4
	v_mov_b32_e32 v9, v3
	s_branch .LBB0_2
.LBB0_8:
	v_mov_b32_e32 v1, v5
	v_mov_b32_e32 v3, v9
	;; [unrolled: 1-line block ×4, first 2 shown]
.LBB0_9:
	s_load_dwordx2 s[0:1], s[4:5], 0x28
	v_mul_hi_u32_u24_e32 v7, 0xca4588, v0
	v_mul_u32_u24_e32 v7, 0x144, v7
	s_lshl_b64 s[2:3], s[14:15], 3
	v_sub_u32_e32 v0, v0, v7
	s_waitcnt lgkmcnt(0)
	v_cmp_gt_u64_e32 vcc, s[0:1], v[3:4]
	s_movk_i32 s0, 0xf3
	s_add_u32 s4, s18, s2
	v_cmp_gt_u32_e64 s[0:1], s0, v0
	s_addc_u32 s5, s19, s3
	s_and_b64 s[14:15], vcc, s[0:1]
	v_mov_b32_e32 v8, 0
	v_mov_b32_e32 v7, 0
	;; [unrolled: 1-line block ×16, first 2 shown]
                                        ; implicit-def: $vgpr12
                                        ; implicit-def: $vgpr30
                                        ; implicit-def: $vgpr32
                                        ; implicit-def: $vgpr28
                                        ; implicit-def: $vgpr34
                                        ; implicit-def: $vgpr14
                                        ; implicit-def: $vgpr38
                                        ; implicit-def: $vgpr36
	s_and_saveexec_b64 s[6:7], s[14:15]
	s_cbranch_execz .LBB0_11
; %bb.10:
	s_add_u32 s2, s16, s2
	s_addc_u32 s3, s17, s3
	s_load_dwordx2 s[2:3], s[2:3], 0x0
	v_mad_u64_u32 v[9:10], s[14:15], s22, v0, 0
	v_lshlrev_b64 v[5:6], 3, v[5:6]
	s_waitcnt lgkmcnt(0)
	v_mul_lo_u32 v12, s3, v3
	v_mul_lo_u32 v13, s2, v4
	v_mad_u64_u32 v[7:8], s[2:3], s2, v3, 0
	v_mad_u64_u32 v[10:11], s[2:3], s23, v0, v[10:11]
	v_add3_u32 v8, v8, v13, v12
	v_lshlrev_b64 v[7:8], 3, v[7:8]
	v_mov_b32_e32 v11, s9
	v_add_co_u32_e64 v7, s[2:3], s8, v7
	v_add_u32_e32 v13, 0xf3, v0
	v_addc_co_u32_e64 v8, s[2:3], v11, v8, s[2:3]
	v_mad_u64_u32 v[11:12], s[2:3], s22, v13, 0
	v_add_co_u32_e64 v7, s[2:3], v7, v5
	v_addc_co_u32_e64 v8, s[2:3], v8, v6, s[2:3]
	v_lshlrev_b64 v[5:6], 3, v[9:10]
	v_mov_b32_e32 v9, v12
	v_mad_u64_u32 v[9:10], s[2:3], s23, v13, v[9:10]
	v_add_u32_e32 v13, 0x1e6, v0
	v_mad_u64_u32 v[15:16], s[2:3], s22, v13, 0
	v_mov_b32_e32 v12, v9
	v_add_co_u32_e64 v5, s[2:3], v7, v5
	v_lshlrev_b64 v[9:10], 3, v[11:12]
	v_mov_b32_e32 v11, v16
	v_addc_co_u32_e64 v6, s[2:3], v8, v6, s[2:3]
	v_mad_u64_u32 v[11:12], s[2:3], s23, v13, v[11:12]
	v_add_u32_e32 v12, 0x2d9, v0
	v_mad_u64_u32 v[17:18], s[2:3], s22, v12, 0
	v_add_co_u32_e64 v13, s[2:3], v7, v9
	v_mov_b32_e32 v16, v11
	v_mov_b32_e32 v11, v18
	v_addc_co_u32_e64 v14, s[2:3], v8, v10, s[2:3]
	v_mad_u64_u32 v[11:12], s[2:3], s23, v12, v[11:12]
	v_add_u32_e32 v12, 0x3cc, v0
	v_lshlrev_b64 v[9:10], 3, v[15:16]
	v_mad_u64_u32 v[15:16], s[2:3], s22, v12, 0
	v_add_co_u32_e64 v35, s[2:3], v7, v9
	v_mov_b32_e32 v18, v11
	v_mov_b32_e32 v11, v16
	v_addc_co_u32_e64 v36, s[2:3], v8, v10, s[2:3]
	v_mad_u64_u32 v[11:12], s[2:3], s23, v12, v[11:12]
	v_add_u32_e32 v12, 0x4bf, v0
	v_lshlrev_b64 v[9:10], 3, v[17:18]
	;; [unrolled: 8-line block ×12, first 2 shown]
	v_mad_u64_u32 v[17:18], s[2:3], s22, v12, 0
	v_add_co_u32_e64 v57, s[2:3], v7, v9
	v_mov_b32_e32 v16, v11
	v_mov_b32_e32 v11, v18
	v_addc_co_u32_e64 v58, s[2:3], v8, v10, s[2:3]
	v_mad_u64_u32 v[11:12], s[2:3], s23, v12, v[11:12]
	v_lshlrev_b64 v[9:10], 3, v[15:16]
	v_add_co_u32_e64 v59, s[2:3], v7, v9
	v_mov_b32_e32 v18, v11
	v_addc_co_u32_e64 v60, s[2:3], v8, v10, s[2:3]
	v_lshlrev_b64 v[9:10], 3, v[17:18]
	v_add_co_u32_e64 v61, s[2:3], v7, v9
	v_addc_co_u32_e64 v62, s[2:3], v8, v10, s[2:3]
	global_load_dwordx2 v[7:8], v[5:6], off
	global_load_dwordx2 v[17:18], v[13:14], off
	;; [unrolled: 1-line block ×13, first 2 shown]
                                        ; kill: killed $vgpr51 killed $vgpr52
                                        ; kill: killed $vgpr41 killed $vgpr42
                                        ; kill: killed $vgpr5 killed $vgpr6
                                        ; kill: killed $vgpr55 killed $vgpr56
                                        ; kill: killed $vgpr45 killed $vgpr46
                                        ; kill: killed $vgpr35 killed $vgpr36
                                        ; kill: killed $vgpr49 killed $vgpr50
                                        ; kill: killed $vgpr39 killed $vgpr40
                                        ; kill: killed $vgpr53 killed $vgpr54
                                        ; kill: killed $vgpr43 killed $vgpr44
                                        ; kill: killed $vgpr13 killed $vgpr14
                                        ; kill: killed $vgpr47 killed $vgpr48
                                        ; kill: killed $vgpr37 killed $vgpr38
	global_load_dwordx2 v[13:14], v[57:58], off
	global_load_dwordx2 v[37:38], v[59:60], off
	;; [unrolled: 1-line block ×3, first 2 shown]
.LBB0_11:
	s_or_b64 exec, exec, s[6:7]
	s_waitcnt vmcnt(5)
	v_sub_f32_e32 v6, v23, v31
	v_sub_f32_e32 v31, v24, v32
	;; [unrolled: 1-line block ×3, first 2 shown]
	s_waitcnt vmcnt(2)
	v_sub_f32_e32 v14, v22, v14
	v_fma_f32 v5, v23, 2.0, -v6
	v_fma_f32 v23, v24, 2.0, -v31
	s_waitcnt vmcnt(1)
	v_sub_f32_e32 v24, v25, v37
	v_sub_f32_e32 v32, v26, v38
	;; [unrolled: 1-line block ×3, first 2 shown]
	v_fma_f32 v18, v18, 2.0, -v30
	v_sub_f32_e32 v37, v21, v13
	v_fma_f32 v38, v22, 2.0, -v14
	v_sub_f32_e32 v27, v15, v27
	v_sub_f32_e32 v28, v16, v28
	s_waitcnt vmcnt(0)
	v_sub_f32_e32 v35, v19, v35
	v_sub_f32_e32 v36, v20, v36
	v_fma_f32 v25, v25, 2.0, -v24
	v_fma_f32 v17, v17, 2.0, -v29
	;; [unrolled: 1-line block ×7, first 2 shown]
	v_sub_f32_e32 v42, v18, v38
	v_fma_f32 v26, v26, 2.0, -v32
	v_sub_f32_e32 v13, v5, v25
	v_sub_f32_e32 v25, v6, v32
	;; [unrolled: 1-line block ×3, first 2 shown]
	v_fma_f32 v16, v18, 2.0, -v42
	v_add_f32_e32 v18, v30, v37
	v_sub_f32_e32 v19, v15, v19
	v_sub_f32_e32 v43, v39, v20
	;; [unrolled: 1-line block ×3, first 2 shown]
	v_fma_f32 v26, v6, 2.0, -v25
	v_fma_f32 v6, v17, 2.0, -v41
	v_sub_f32_e32 v17, v29, v14
	v_fma_f32 v40, v30, 2.0, -v18
	v_fma_f32 v14, v15, 2.0, -v19
	v_fma_f32 v15, v39, 2.0, -v43
	v_add_f32_e32 v39, v28, v35
	v_fma_f32 v37, v29, 2.0, -v17
	v_sub_f32_e32 v36, v27, v36
	v_fma_f32 v28, v28, 2.0, -v39
	v_mov_b32_e32 v21, v40
	v_fma_f32 v27, v27, 2.0, -v36
	v_sub_f32_e32 v20, v6, v14
	v_mov_b32_e32 v14, v37
	v_fmac_f32_e32 v21, 0xbf3504f3, v28
	v_add_f32_e32 v24, v31, v24
	v_mul_f32_e32 v29, 0x3f3504f3, v25
	v_fmac_f32_e32 v14, 0xbf3504f3, v27
	v_fmac_f32_e32 v21, 0x3f3504f3, v27
	v_mov_b32_e32 v25, v17
	v_mov_b32_e32 v27, v18
	v_fma_f32 v31, v31, 2.0, -v24
	v_sub_f32_e32 v30, v16, v15
	v_sub_f32_e32 v15, v41, v43
	v_add_f32_e32 v19, v42, v19
	v_fmac_f32_e32 v25, 0x3f3504f3, v36
	v_fmac_f32_e32 v27, 0x3f3504f3, v39
	v_mul_f32_e32 v32, 0x3f3504f3, v26
	v_mul_f32_e32 v38, 0x3f3504f3, v31
	v_mul_f32_e32 v31, 0x3f3504f3, v24
	v_fmac_f32_e32 v14, 0xbf3504f3, v28
	v_fma_f32 v24, v41, 2.0, -v15
	v_fma_f32 v26, v42, 2.0, -v19
	v_fmac_f32_e32 v25, 0xbf3504f3, v39
	v_fmac_f32_e32 v27, 0x3f3504f3, v36
	v_sub_f32_e32 v33, v9, v33
	v_sub_f32_e32 v34, v10, v34
	v_fma_f32 v35, v37, 2.0, -v14
	v_fma_f32 v40, v40, 2.0, -v21
	;; [unrolled: 1-line block ×4, first 2 shown]
	v_mul_f32_e32 v43, 0x3f3504f3, v24
	v_mul_f32_e32 v44, 0x3f3504f3, v26
	;; [unrolled: 1-line block ×4, first 2 shown]
	s_and_saveexec_b64 s[2:3], s[0:1]
	s_cbranch_execz .LBB0_13
; %bb.12:
	v_sub_f32_e32 v11, v7, v11
	v_sub_f32_e32 v15, v11, v34
	v_add_f32_e32 v17, v15, v29
	v_fma_f32 v7, v7, 2.0, -v11
	v_fma_f32 v9, v9, 2.0, -v33
	v_sub_f32_e32 v19, v17, v31
	v_sub_f32_e32 v9, v7, v9
	v_fma_f32 v28, v7, 2.0, -v9
	v_fma_f32 v7, v15, 2.0, -v19
	v_mov_b32_e32 v48, v7
	v_fmac_f32_e32 v48, 0xbec3ef15, v41
	v_sub_f32_e32 v24, v9, v22
	v_fma_f32 v11, v11, 2.0, -v15
	v_fmac_f32_e32 v48, 0xbf6c835e, v42
	v_sub_f32_e32 v26, v11, v32
	v_fma_f32 v50, v7, 2.0, -v48
	v_fma_f32 v7, v9, 2.0, -v24
	v_sub_f32_e32 v26, v26, v38
	v_sub_f32_e32 v9, v7, v43
	v_fma_f32 v5, v5, 2.0, -v13
	v_sub_f32_e32 v47, v9, v44
	v_fma_f32 v9, v11, 2.0, -v26
	;; [unrolled: 2-line block ×3, first 2 shown]
	v_mov_b32_e32 v7, v9
	v_fmac_f32_e32 v7, 0xbf6c835e, v35
	v_fma_f32 v11, v28, 2.0, -v5
	v_fma_f32 v6, v6, 2.0, -v20
	v_fmac_f32_e32 v7, 0xbec3ef15, v40
	v_sub_f32_e32 v6, v11, v6
	v_fma_f32 v52, v9, 2.0, -v7
	v_fma_f32 v51, v11, 2.0, -v6
	v_lshl_add_u32 v9, v0, 6, 0
	v_mov_b32_e32 v18, v19
	ds_write2_b64 v9, v[51:52], v[49:50] offset1:1
	v_mov_b32_e32 v50, v26
	v_fmac_f32_e32 v18, 0x3f6c835e, v25
	v_add_f32_e32 v17, v24, v36
	v_fmac_f32_e32 v50, 0x3ec3ef15, v14
	v_fmac_f32_e32 v18, 0xbec3ef15, v27
	v_sub_f32_e32 v17, v17, v39
	v_fmac_f32_e32 v50, 0xbf6c835e, v21
	v_sub_f32_e32 v49, v5, v30
	v_fma_f32 v46, v19, 2.0, -v18
	v_fma_f32 v45, v24, 2.0, -v17
	;; [unrolled: 1-line block ×4, first 2 shown]
	ds_write2_b64 v9, v[51:52], v[45:46] offset0:2 offset1:3
	ds_write2_b64 v9, v[6:7], v[47:48] offset0:4 offset1:5
	;; [unrolled: 1-line block ×3, first 2 shown]
.LBB0_13:
	s_or_b64 exec, exec, s[2:3]
	v_lshl_add_u32 v15, v0, 2, 0
	s_waitcnt lgkmcnt(0)
	s_barrier
	ds_read_b32 v9, v15
	ds_read_b32 v7, v15 offset:1296
	ds_read_b32 v5, v15 offset:2592
	;; [unrolled: 1-line block ×11, first 2 shown]
	s_waitcnt lgkmcnt(0)
	s_barrier
	s_and_saveexec_b64 s[2:3], s[0:1]
	s_cbranch_execz .LBB0_15
; %bb.14:
	v_sub_f32_e32 v12, v8, v12
	v_fma_f32 v8, v8, 2.0, -v12
	v_fma_f32 v10, v10, 2.0, -v34
	v_sub_f32_e32 v10, v8, v10
	v_add_f32_e32 v33, v12, v33
	v_fma_f32 v8, v8, 2.0, -v10
	v_fma_f32 v12, v12, 2.0, -v33
	;; [unrolled: 1-line block ×3, first 2 shown]
	v_sub_f32_e32 v34, v8, v22
	v_sub_f32_e32 v22, v12, v38
	v_add_f32_e32 v38, v32, v22
	v_fma_f32 v23, v12, 2.0, -v38
	v_add_f32_e32 v12, v33, v31
	v_fma_f32 v8, v8, 2.0, -v34
	v_add_f32_e32 v45, v10, v13
	v_add_f32_e32 v46, v29, v12
	v_fma_f32 v12, v16, 2.0, -v30
	v_fma_f32 v10, v10, 2.0, -v45
	v_sub_f32_e32 v12, v8, v12
	v_fma_f32 v32, v33, 2.0, -v46
	v_fma_f32 v22, v8, 2.0, -v12
	v_mov_b32_e32 v13, v23
	v_sub_f32_e32 v8, v10, v44
	v_fmac_f32_e32 v13, 0xbf6c835e, v40
	v_add_f32_e32 v29, v43, v8
	v_mov_b32_e32 v30, v32
	v_add_f32_e32 v33, v34, v20
	v_add_f32_e32 v8, v45, v39
	v_fmac_f32_e32 v13, 0x3ec3ef15, v35
	v_fmac_f32_e32 v30, 0xbec3ef15, v42
	v_fma_f32 v20, v34, 2.0, -v33
	v_mov_b32_e32 v34, v38
	v_add_f32_e32 v35, v36, v8
	v_mov_b32_e32 v36, v46
	v_fmac_f32_e32 v30, 0x3f6c835e, v41
	v_fmac_f32_e32 v34, 0x3ec3ef15, v21
	v_fmac_f32_e32 v36, 0x3f6c835e, v27
	v_fma_f32 v23, v23, 2.0, -v13
	v_fma_f32 v31, v10, 2.0, -v29
	;; [unrolled: 1-line block ×3, first 2 shown]
	v_fmac_f32_e32 v34, 0x3f6c835e, v14
	v_fmac_f32_e32 v36, 0x3ec3ef15, v25
	v_mad_u32_u24 v8, v0, 60, v15
	v_fma_f32 v21, v38, 2.0, -v34
	v_fma_f32 v38, v45, 2.0, -v35
	v_fma_f32 v39, v46, 2.0, -v36
	ds_write2_b64 v8, v[22:23], v[31:32] offset1:1
	ds_write2_b64 v8, v[20:21], v[38:39] offset0:2 offset1:3
	ds_write2_b64 v8, v[12:13], v[29:30] offset0:4 offset1:5
	;; [unrolled: 1-line block ×3, first 2 shown]
.LBB0_15:
	s_or_b64 exec, exec, s[2:3]
	v_and_b32_e32 v8, 15, v0
	v_lshlrev_b32_e32 v10, 4, v8
	s_load_dwordx2 s[2:3], s[4:5], 0x0
	s_waitcnt lgkmcnt(0)
	s_barrier
	global_load_dwordx4 v[20:23], v10, s[12:13]
	v_add_u32_e32 v16, 0x144, v0
	ds_read_b32 v10, v15 offset:7776
	ds_read_b32 v12, v15 offset:9072
	;; [unrolled: 1-line block ×4, first 2 shown]
	v_and_b32_e32 v38, 15, v16
	v_lshlrev_b32_e32 v29, 4, v38
	v_add_u32_e32 v14, 0x288, v0
	global_load_dwordx4 v[29:32], v29, s[12:13]
	v_add_u32_e32 v13, 0x3cc, v0
	ds_read_b32 v39, v15 offset:10368
	ds_read_b32 v40, v15 offset:11664
	;; [unrolled: 1-line block ×4, first 2 shown]
	v_and_b32_e32 v43, 15, v14
	v_and_b32_e32 v44, 15, v13
	v_lshlrev_b32_e32 v33, 4, v43
	v_lshlrev_b32_e32 v45, 4, v44
	s_mov_b32 s0, 0xaaab
	s_waitcnt vmcnt(1) lgkmcnt(5)
	v_mul_f32_e32 v34, v25, v21
	v_mul_f32_e32 v46, v37, v21
	v_fma_f32 v37, v37, v20, -v34
	global_load_dwordx4 v[33:36], v33, s[12:13]
	s_waitcnt lgkmcnt(3)
	v_mul_f32_e32 v21, v39, v23
	v_fmac_f32_e32 v46, v25, v20
	v_mul_f32_e32 v25, v28, v23
	v_fma_f32 v28, v28, v22, -v21
	v_fmac_f32_e32 v25, v39, v22
	global_load_dwordx4 v[20:23], v45, s[12:13]
	ds_read_b32 v39, v15 offset:6480
	s_waitcnt vmcnt(2) lgkmcnt(0)
	v_mul_f32_e32 v45, v39, v30
	v_mul_f32_e32 v30, v24, v30
	v_fma_f32 v24, v24, v29, -v45
	v_mul_f32_e32 v45, v40, v32
	v_fmac_f32_e32 v30, v39, v29
	v_mul_f32_e32 v29, v26, v32
	v_fma_f32 v26, v26, v31, -v45
	v_fmac_f32_e32 v29, v40, v31
	ds_read_b32 v31, v15
	ds_read_b32 v32, v15 offset:1296
	ds_read_b32 v39, v15 offset:2592
	s_waitcnt vmcnt(0) lgkmcnt(0)
	s_barrier
	v_mul_f32_e32 v40, v10, v34
	v_mul_f32_e32 v34, v18, v34
	v_fma_f32 v18, v18, v33, -v40
	v_fmac_f32_e32 v34, v10, v33
	v_mul_f32_e32 v45, v41, v36
	v_mul_f32_e32 v36, v19, v36
	;; [unrolled: 1-line block ×6, first 2 shown]
	v_fma_f32 v10, v11, v20, -v10
	v_fma_f32 v11, v17, v22, -v33
	v_fmac_f32_e32 v23, v42, v22
	v_add_f32_e32 v17, v37, v28
	v_add_f32_e32 v22, v31, v46
	v_fmac_f32_e32 v21, v12, v20
	v_add_f32_e32 v12, v9, v37
	v_sub_f32_e32 v20, v46, v25
	v_add_f32_e32 v33, v46, v25
	v_fmac_f32_e32 v9, -0.5, v17
	v_add_f32_e32 v17, v22, v25
	v_add_f32_e32 v25, v24, v26
	v_fma_f32 v19, v19, v35, -v45
	v_fmac_f32_e32 v36, v41, v35
	v_sub_f32_e32 v35, v37, v28
	v_add_f32_e32 v22, v7, v24
	v_mov_b32_e32 v37, v9
	v_fmac_f32_e32 v7, -0.5, v25
	v_add_f32_e32 v12, v12, v28
	v_sub_f32_e32 v28, v30, v29
	v_fmac_f32_e32 v9, 0xbf5db3d7, v20
	v_fmac_f32_e32 v37, 0x3f5db3d7, v20
	v_mov_b32_e32 v20, v7
	v_fmac_f32_e32 v7, 0xbf5db3d7, v28
	v_fmac_f32_e32 v20, 0x3f5db3d7, v28
	v_add_f32_e32 v28, v30, v29
	v_fmac_f32_e32 v31, -0.5, v33
	v_add_f32_e32 v33, v32, v30
	v_fmac_f32_e32 v32, -0.5, v28
	v_add_f32_e32 v22, v22, v26
	v_sub_f32_e32 v24, v24, v26
	v_mov_b32_e32 v26, v32
	v_add_f32_e32 v28, v18, v19
	v_fmac_f32_e32 v26, 0xbf5db3d7, v24
	v_fmac_f32_e32 v32, 0x3f5db3d7, v24
	v_add_f32_e32 v24, v5, v18
	v_fmac_f32_e32 v5, -0.5, v28
	v_add_f32_e32 v25, v33, v29
	v_sub_f32_e32 v28, v34, v36
	v_mov_b32_e32 v29, v5
	v_add_f32_e32 v30, v34, v36
	v_fmac_f32_e32 v29, 0x3f5db3d7, v28
	v_fmac_f32_e32 v5, 0xbf5db3d7, v28
	;; [unrolled: 8-line block ×3, first 2 shown]
	v_add_f32_e32 v18, v6, v10
	v_fmac_f32_e32 v6, -0.5, v30
	v_sub_f32_e32 v30, v21, v23
	v_mov_b32_e32 v33, v6
	v_fmac_f32_e32 v33, 0x3f5db3d7, v30
	v_fmac_f32_e32 v6, 0xbf5db3d7, v30
	v_add_f32_e32 v30, v27, v21
	v_add_f32_e32 v21, v21, v23
	v_fmac_f32_e32 v27, -0.5, v21
	v_add_f32_e32 v18, v18, v11
	v_sub_f32_e32 v10, v10, v11
	v_mov_b32_e32 v11, v27
	v_fmac_f32_e32 v11, 0xbf5db3d7, v10
	v_fmac_f32_e32 v27, 0x3f5db3d7, v10
	v_lshrrev_b32_e32 v10, 4, v0
	v_mul_u32_u24_e32 v10, 48, v10
	v_or_b32_e32 v8, v10, v8
	v_lshl_add_u32 v8, v8, 2, 0
	ds_write2_b32 v8, v12, v37 offset1:16
	ds_write_b32 v8, v9 offset:128
	v_lshrrev_b32_e32 v9, 4, v16
	v_mul_u32_u24_e32 v9, 48, v9
	v_or_b32_e32 v9, v9, v38
	v_lshl_add_u32 v9, v9, 2, 0
	ds_write2_b32 v9, v22, v20 offset1:16
	ds_write_b32 v9, v7 offset:128
	;; [unrolled: 6-line block ×3, first 2 shown]
	v_lshrrev_b32_e32 v5, 4, v13
	v_mul_u32_u24_e32 v5, 48, v5
	v_mov_b32_e32 v40, v31
	v_or_b32_e32 v5, v5, v44
	v_fmac_f32_e32 v40, 0xbf5db3d7, v35
	v_lshl_add_u32 v5, v5, 2, 0
	v_fmac_f32_e32 v31, 0x3f5db3d7, v35
	v_add_f32_e32 v28, v28, v36
	v_add_f32_e32 v30, v30, v23
	ds_write2_b32 v5, v18, v33 offset1:16
	ds_write_b32 v5, v6 offset:128
	s_waitcnt lgkmcnt(0)
	s_barrier
	ds_read_b32 v18, v15
	ds_read_b32 v20, v15 offset:1296
	ds_read_b32 v21, v15 offset:2592
	ds_read_b32 v22, v15 offset:7776
	ds_read_b32 v23, v15 offset:9072
	ds_read_b32 v24, v15 offset:6480
	ds_read_b32 v29, v15 offset:5184
	ds_read_b32 v33, v15 offset:3888
	ds_read_b32 v34, v15 offset:10368
	ds_read_b32 v35, v15 offset:11664
	ds_read_b32 v36, v15 offset:12960
	ds_read_b32 v37, v15 offset:14256
	s_waitcnt lgkmcnt(0)
	s_barrier
	ds_write2_b32 v8, v17, v40 offset1:16
	ds_write_b32 v8, v31 offset:128
	ds_write2_b32 v9, v25, v26 offset1:16
	ds_write_b32 v9, v32 offset:128
	;; [unrolled: 2-line block ×4, first 2 shown]
	v_mul_u32_u24_sdwa v5, v0, s0 dst_sel:DWORD dst_unused:UNUSED_PAD src0_sel:WORD_0 src1_sel:DWORD
	v_lshrrev_b32_e32 v17, 21, v5
	v_mul_lo_u16_e32 v5, 48, v17
	v_sub_u16_e32 v19, v0, v5
	v_mul_u32_u24_sdwa v9, v16, s0 dst_sel:DWORD dst_unused:UNUSED_PAD src0_sel:WORD_0 src1_sel:DWORD
	v_lshlrev_b32_e32 v5, 4, v19
	v_lshrrev_b32_e32 v25, 21, v9
	s_waitcnt lgkmcnt(0)
	s_barrier
	global_load_dwordx4 v[5:8], v5, s[12:13] offset:256
	v_mul_lo_u16_e32 v9, 48, v25
	v_sub_u16_e32 v26, v16, v9
	v_lshlrev_b32_e32 v9, 4, v26
	global_load_dwordx4 v[9:12], v9, s[12:13] offset:256
	ds_read_b32 v27, v15 offset:7776
	ds_read_b32 v28, v15 offset:9072
	;; [unrolled: 1-line block ×9, first 2 shown]
	s_waitcnt vmcnt(1) lgkmcnt(5)
	v_mul_f32_e32 v42, v31, v6
	v_fma_f32 v42, v29, v5, -v42
	v_mul_f32_e32 v29, v29, v6
	v_fmac_f32_e32 v29, v31, v5
	s_waitcnt lgkmcnt(3)
	v_mul_f32_e32 v5, v38, v8
	v_fma_f32 v31, v34, v7, -v5
	v_mul_f32_e32 v34, v34, v8
	s_waitcnt vmcnt(0)
	v_mul_f32_e32 v5, v30, v10
	v_fmac_f32_e32 v34, v38, v7
	v_fma_f32 v38, v24, v9, -v5
	v_mul_f32_e32 v24, v24, v10
	v_mul_u32_u24_sdwa v5, v14, s0 dst_sel:DWORD dst_unused:UNUSED_PAD src0_sel:WORD_0 src1_sel:DWORD
	v_lshrrev_b32_e32 v43, 21, v5
	v_fmac_f32_e32 v24, v30, v9
	s_waitcnt lgkmcnt(2)
	v_mul_f32_e32 v9, v39, v12
	v_mul_lo_u16_e32 v5, 48, v43
	v_fma_f32 v30, v35, v11, -v9
	v_mul_f32_e32 v35, v35, v12
	v_mul_u32_u24_sdwa v9, v13, s0 dst_sel:DWORD dst_unused:UNUSED_PAD src0_sel:WORD_0 src1_sel:DWORD
	v_sub_u16_e32 v44, v14, v5
	v_fmac_f32_e32 v35, v39, v11
	v_lshrrev_b32_e32 v39, 21, v9
	v_lshlrev_b32_e32 v5, 4, v44
	v_mul_lo_u16_e32 v9, 48, v39
	global_load_dwordx4 v[5:8], v5, s[12:13] offset:256
	v_sub_u16_e32 v45, v13, v9
	v_lshlrev_b32_e32 v9, 4, v45
	global_load_dwordx4 v[9:12], v9, s[12:13] offset:256
	s_mov_b32 s0, 0xe38f
	s_waitcnt vmcnt(1)
	v_mul_f32_e32 v46, v27, v6
	v_mul_f32_e32 v6, v22, v6
	v_fma_f32 v46, v22, v5, -v46
	v_fmac_f32_e32 v6, v27, v5
	s_waitcnt lgkmcnt(1)
	v_mul_f32_e32 v5, v40, v8
	v_fma_f32 v5, v36, v7, -v5
	v_mul_f32_e32 v8, v36, v8
	s_waitcnt vmcnt(0)
	v_mul_f32_e32 v36, v28, v10
	v_mul_f32_e32 v10, v23, v10
	v_fmac_f32_e32 v8, v40, v7
	ds_read_b32 v7, v15
	ds_read_b32 v22, v15 offset:1296
	ds_read_b32 v27, v15 offset:2592
	v_fma_f32 v36, v23, v9, -v36
	v_fmac_f32_e32 v10, v28, v9
	s_waitcnt lgkmcnt(3)
	v_mul_f32_e32 v9, v41, v12
	v_mul_f32_e32 v12, v37, v12
	v_add_f32_e32 v23, v42, v31
	v_fma_f32 v9, v37, v11, -v9
	v_fmac_f32_e32 v12, v41, v11
	v_add_f32_e32 v11, v18, v42
	v_fmac_f32_e32 v18, -0.5, v23
	v_sub_f32_e32 v23, v29, v34
	v_mov_b32_e32 v28, v18
	v_fmac_f32_e32 v28, 0x3f5db3d7, v23
	v_fmac_f32_e32 v18, 0xbf5db3d7, v23
	s_waitcnt lgkmcnt(2)
	v_add_f32_e32 v23, v7, v29
	v_add_f32_e32 v29, v29, v34
	v_fmac_f32_e32 v7, -0.5, v29
	v_add_f32_e32 v11, v11, v31
	v_add_f32_e32 v23, v23, v34
	v_sub_f32_e32 v29, v42, v31
	v_mov_b32_e32 v31, v7
	v_add_f32_e32 v34, v38, v30
	v_fmac_f32_e32 v31, 0xbf5db3d7, v29
	v_fmac_f32_e32 v7, 0x3f5db3d7, v29
	v_add_f32_e32 v29, v20, v38
	v_fmac_f32_e32 v20, -0.5, v34
	v_sub_f32_e32 v34, v24, v35
	v_mov_b32_e32 v37, v20
	v_fmac_f32_e32 v37, 0x3f5db3d7, v34
	v_fmac_f32_e32 v20, 0xbf5db3d7, v34
	s_waitcnt lgkmcnt(1)
	v_add_f32_e32 v34, v22, v24
	v_add_f32_e32 v24, v24, v35
	v_fmac_f32_e32 v22, -0.5, v24
	v_add_f32_e32 v29, v29, v30
	v_add_f32_e32 v34, v34, v35
	v_sub_f32_e32 v24, v38, v30
	v_mov_b32_e32 v30, v22
	v_add_f32_e32 v35, v46, v5
	v_fmac_f32_e32 v30, 0xbf5db3d7, v24
	;; [unrolled: 17-line block ×3, first 2 shown]
	v_fmac_f32_e32 v27, 0x3f5db3d7, v5
	v_add_f32_e32 v5, v33, v36
	v_fmac_f32_e32 v33, -0.5, v8
	v_sub_f32_e32 v8, v10, v12
	v_mov_b32_e32 v40, v33
	v_fmac_f32_e32 v40, 0x3f5db3d7, v8
	v_fmac_f32_e32 v33, 0xbf5db3d7, v8
	v_add_f32_e32 v8, v32, v10
	v_add_f32_e32 v10, v10, v12
	v_fmac_f32_e32 v32, -0.5, v10
	v_add_f32_e32 v5, v5, v9
	v_sub_f32_e32 v9, v36, v9
	v_mov_b32_e32 v10, v32
	v_add_f32_e32 v8, v8, v12
	v_fmac_f32_e32 v10, 0xbf5db3d7, v9
	v_fmac_f32_e32 v32, 0x3f5db3d7, v9
	v_mul_u32_u24_e32 v9, 0x240, v17
	v_lshlrev_b32_e32 v12, 2, v19
	v_add3_u32 v9, 0, v9, v12
	s_barrier
	ds_write2_b32 v9, v11, v28 offset1:48
	ds_write_b32 v9, v18 offset:384
	v_mul_u32_u24_e32 v11, 0x240, v25
	v_lshlrev_b32_e32 v12, 2, v26
	v_add3_u32 v11, 0, v11, v12
	v_mul_u32_u24_e32 v12, 0x240, v43
	v_lshlrev_b32_e32 v17, 2, v44
	v_add3_u32 v12, 0, v12, v17
	;; [unrolled: 3-line block ×3, first 2 shown]
	ds_write2_b32 v11, v29, v37 offset1:48
	ds_write_b32 v11, v20 offset:384
	ds_write2_b32 v12, v24, v38 offset1:48
	ds_write_b32 v12, v21 offset:384
	;; [unrolled: 2-line block ×3, first 2 shown]
	v_mul_u32_u24_sdwa v5, v0, s0 dst_sel:DWORD dst_unused:UNUSED_PAD src0_sel:WORD_0 src1_sel:DWORD
	s_waitcnt lgkmcnt(0)
	s_barrier
	ds_read_b32 v18, v15
	ds_read_b32 v19, v15 offset:1296
	ds_read_b32 v20, v15 offset:2592
	;; [unrolled: 1-line block ×11, first 2 shown]
	s_waitcnt lgkmcnt(0)
	s_barrier
	ds_write2_b32 v9, v23, v31 offset1:48
	ds_write_b32 v9, v7 offset:384
	ds_write2_b32 v11, v34, v30 offset1:48
	ds_write_b32 v11, v22 offset:384
	;; [unrolled: 2-line block ×4, first 2 shown]
	v_lshrrev_b32_e32 v17, 23, v5
	v_mul_lo_u16_e32 v5, 0x90, v17
	v_sub_u16_e32 v22, v0, v5
	v_mul_u32_u24_sdwa v9, v16, s0 dst_sel:DWORD dst_unused:UNUSED_PAD src0_sel:WORD_0 src1_sel:DWORD
	v_lshlrev_b32_e32 v5, 4, v22
	v_lshrrev_b32_e32 v23, 23, v9
	s_waitcnt lgkmcnt(0)
	s_barrier
	global_load_dwordx4 v[5:8], v5, s[12:13] offset:1024
	v_mul_lo_u16_e32 v9, 0x90, v23
	v_sub_u16_e32 v27, v16, v9
	v_lshlrev_b32_e32 v9, 4, v27
	global_load_dwordx4 v[9:12], v9, s[12:13] offset:1024
	ds_read_b32 v30, v15 offset:7776
	ds_read_b32 v31, v15 offset:9072
	;; [unrolled: 1-line block ×9, first 2 shown]
	s_waitcnt vmcnt(1) lgkmcnt(5)
	v_mul_f32_e32 v42, v34, v6
	v_fma_f32 v42, v26, v5, -v42
	v_mul_f32_e32 v26, v26, v6
	v_fmac_f32_e32 v26, v34, v5
	s_waitcnt lgkmcnt(3)
	v_mul_f32_e32 v5, v38, v8
	v_fma_f32 v34, v29, v7, -v5
	v_mul_f32_e32 v29, v29, v8
	s_waitcnt vmcnt(0)
	v_mul_f32_e32 v5, v32, v10
	v_fmac_f32_e32 v29, v38, v7
	v_fma_f32 v38, v25, v9, -v5
	v_mul_f32_e32 v25, v25, v10
	v_mul_u32_u24_sdwa v5, v14, s0 dst_sel:DWORD dst_unused:UNUSED_PAD src0_sel:WORD_0 src1_sel:DWORD
	v_lshrrev_b32_e32 v43, 23, v5
	v_fmac_f32_e32 v25, v32, v9
	s_waitcnt lgkmcnt(2)
	v_mul_f32_e32 v9, v39, v12
	v_mul_lo_u16_e32 v5, 0x90, v43
	v_fma_f32 v32, v33, v11, -v9
	v_mul_f32_e32 v33, v33, v12
	v_mul_u32_u24_sdwa v9, v13, s0 dst_sel:DWORD dst_unused:UNUSED_PAD src0_sel:WORD_0 src1_sel:DWORD
	v_sub_u16_e32 v44, v14, v5
	v_fmac_f32_e32 v33, v39, v11
	v_lshrrev_b32_e32 v39, 23, v9
	v_lshlrev_b32_e32 v5, 4, v44
	v_mul_lo_u16_e32 v9, 0x90, v39
	global_load_dwordx4 v[5:8], v5, s[12:13] offset:1024
	v_sub_u16_e32 v45, v13, v9
	v_lshlrev_b32_e32 v9, 4, v45
	global_load_dwordx4 v[9:12], v9, s[12:13] offset:1024
	s_waitcnt vmcnt(1)
	v_mul_f32_e32 v46, v30, v6
	v_mul_f32_e32 v6, v21, v6
	v_fma_f32 v46, v21, v5, -v46
	v_fmac_f32_e32 v6, v30, v5
	s_waitcnt lgkmcnt(1)
	v_mul_f32_e32 v5, v40, v8
	v_fma_f32 v5, v36, v7, -v5
	v_mul_f32_e32 v8, v36, v8
	s_waitcnt vmcnt(0)
	v_mul_f32_e32 v36, v31, v10
	v_mul_f32_e32 v10, v24, v10
	v_fmac_f32_e32 v8, v40, v7
	ds_read_b32 v7, v15
	ds_read_b32 v21, v15 offset:1296
	ds_read_b32 v30, v15 offset:2592
	v_fma_f32 v36, v24, v9, -v36
	v_fmac_f32_e32 v10, v31, v9
	s_waitcnt lgkmcnt(3)
	v_mul_f32_e32 v9, v41, v12
	v_mul_f32_e32 v12, v37, v12
	v_add_f32_e32 v24, v42, v34
	v_fma_f32 v9, v37, v11, -v9
	v_fmac_f32_e32 v12, v41, v11
	v_add_f32_e32 v11, v18, v42
	v_fmac_f32_e32 v18, -0.5, v24
	v_sub_f32_e32 v24, v26, v29
	v_mov_b32_e32 v31, v18
	v_fmac_f32_e32 v31, 0x3f5db3d7, v24
	v_fmac_f32_e32 v18, 0xbf5db3d7, v24
	s_waitcnt lgkmcnt(2)
	v_add_f32_e32 v24, v7, v26
	v_add_f32_e32 v26, v26, v29
	v_fmac_f32_e32 v7, -0.5, v26
	v_add_f32_e32 v11, v11, v34
	v_add_f32_e32 v24, v24, v29
	v_sub_f32_e32 v26, v42, v34
	v_mov_b32_e32 v29, v7
	v_add_f32_e32 v34, v38, v32
	v_fmac_f32_e32 v29, 0xbf5db3d7, v26
	v_fmac_f32_e32 v7, 0x3f5db3d7, v26
	v_add_f32_e32 v26, v19, v38
	v_fmac_f32_e32 v19, -0.5, v34
	v_sub_f32_e32 v34, v25, v33
	v_mov_b32_e32 v37, v19
	v_fmac_f32_e32 v37, 0x3f5db3d7, v34
	v_fmac_f32_e32 v19, 0xbf5db3d7, v34
	s_waitcnt lgkmcnt(1)
	v_add_f32_e32 v34, v21, v25
	v_add_f32_e32 v25, v25, v33
	v_fmac_f32_e32 v21, -0.5, v25
	v_add_f32_e32 v26, v26, v32
	v_add_f32_e32 v34, v34, v33
	v_sub_f32_e32 v25, v38, v32
	v_mov_b32_e32 v32, v21
	v_add_f32_e32 v33, v46, v5
	v_fmac_f32_e32 v32, 0xbf5db3d7, v25
	;; [unrolled: 17-line block ×3, first 2 shown]
	v_fmac_f32_e32 v30, 0x3f5db3d7, v5
	v_add_f32_e32 v5, v28, v36
	v_fmac_f32_e32 v28, -0.5, v8
	v_sub_f32_e32 v8, v10, v12
	v_mov_b32_e32 v40, v28
	v_fmac_f32_e32 v40, 0x3f5db3d7, v8
	v_fmac_f32_e32 v28, 0xbf5db3d7, v8
	v_add_f32_e32 v8, v35, v10
	v_add_f32_e32 v10, v10, v12
	v_fmac_f32_e32 v35, -0.5, v10
	v_add_f32_e32 v5, v5, v9
	v_sub_f32_e32 v9, v36, v9
	v_mov_b32_e32 v10, v35
	v_add_f32_e32 v8, v8, v12
	v_fmac_f32_e32 v10, 0xbf5db3d7, v9
	v_fmac_f32_e32 v35, 0x3f5db3d7, v9
	v_mul_u32_u24_e32 v9, 0x6c0, v17
	v_lshlrev_b32_e32 v12, 2, v22
	v_add3_u32 v9, 0, v9, v12
	s_barrier
	ds_write2_b32 v9, v11, v31 offset1:144
	ds_write_b32 v9, v18 offset:1152
	v_mul_u32_u24_e32 v11, 0x6c0, v23
	v_lshlrev_b32_e32 v12, 2, v27
	v_add3_u32 v11, 0, v11, v12
	v_mul_u32_u24_e32 v12, 0x6c0, v43
	v_lshlrev_b32_e32 v17, 2, v44
	v_add3_u32 v12, 0, v12, v17
	;; [unrolled: 3-line block ×3, first 2 shown]
	ds_write2_b32 v11, v26, v37 offset1:144
	ds_write_b32 v11, v19 offset:1152
	ds_write2_b32 v12, v25, v38 offset1:144
	ds_write_b32 v12, v20 offset:1152
	;; [unrolled: 2-line block ×3, first 2 shown]
	s_waitcnt lgkmcnt(0)
	s_barrier
	ds_read_b32 v22, v15
	ds_read_b32 v23, v15 offset:1296
	ds_read_b32 v25, v15 offset:2592
	;; [unrolled: 1-line block ×11, first 2 shown]
	s_waitcnt lgkmcnt(0)
	s_barrier
	ds_write2_b32 v9, v24, v29 offset1:144
	ds_write_b32 v9, v7 offset:1152
	ds_write2_b32 v11, v34, v32 offset1:144
	ds_write_b32 v11, v21 offset:1152
	;; [unrolled: 2-line block ×4, first 2 shown]
	v_lshlrev_b32_e32 v7, 1, v0
	v_mov_b32_e32 v8, 0
	v_lshlrev_b64 v[5:6], 3, v[7:8]
	v_mov_b32_e32 v19, s13
	v_add_co_u32_e64 v5, s[0:1], s12, v5
	v_addc_co_u32_e64 v6, s[0:1], v19, v6, s[0:1]
	s_movk_i32 s0, 0x6c
	v_add_u32_e32 v7, 0xffffff94, v0
	v_cmp_gt_u32_e64 s[0:1], s0, v0
	v_cndmask_b32_e64 v21, v7, v16, s[0:1]
	v_lshlrev_b32_e32 v7, 1, v21
	v_lshlrev_b64 v[17:18], 3, v[7:8]
	s_waitcnt lgkmcnt(0)
	s_barrier
	global_load_dwordx4 v[9:12], v[5:6], off offset:3328
	v_add_co_u32_e64 v17, s[0:1], s12, v17
	v_addc_co_u32_e64 v18, s[0:1], v19, v18, s[0:1]
	global_load_dwordx4 v[17:20], v[17:18], off offset:3328
	ds_read_b32 v7, v15 offset:7776
	ds_read_b32 v24, v15 offset:9072
	ds_read_b32 v29, v15 offset:6480
	ds_read_b32 v30, v15 offset:5184
	ds_read_b32 v32, v15 offset:3888
	ds_read_b32 v33, v15 offset:10368
	ds_read_b32 v34, v15 offset:11664
	ds_read_b32 v35, v15 offset:12960
	ds_read_b32 v41, v15 offset:14256
	s_movk_i32 s0, 0x6b
	v_cmp_lt_u32_e64 s[0:1], s0, v0
	s_waitcnt vmcnt(1) lgkmcnt(5)
	v_mul_f32_e32 v42, v30, v10
	v_fma_f32 v42, v31, v9, -v42
	v_mul_f32_e32 v31, v31, v10
	v_fmac_f32_e32 v31, v30, v9
	s_waitcnt lgkmcnt(3)
	v_mul_f32_e32 v9, v33, v12
	v_fma_f32 v30, v37, v11, -v9
	v_mul_f32_e32 v37, v37, v12
	s_waitcnt vmcnt(0)
	v_mul_f32_e32 v9, v29, v18
	v_fmac_f32_e32 v37, v33, v11
	v_fma_f32 v33, v28, v17, -v9
	v_mul_f32_e32 v28, v28, v18
	v_lshrrev_b16_e32 v9, 4, v14
	v_fmac_f32_e32 v28, v29, v17
	v_mul_u32_u24_e32 v9, 0x12f7, v9
	s_waitcnt lgkmcnt(2)
	v_mul_f32_e32 v17, v34, v20
	v_lshrrev_b32_e32 v29, 17, v9
	v_fma_f32 v44, v38, v19, -v17
	v_lshrrev_b16_e32 v17, 4, v13
	v_mul_lo_u16_e32 v9, 0x1b0, v29
	v_mul_u32_u24_e32 v17, 0x12f7, v17
	v_sub_u16_e32 v43, v14, v9
	v_lshrrev_b32_e32 v17, 17, v17
	v_lshlrev_b32_e32 v9, 4, v43
	v_mul_f32_e32 v38, v38, v20
	v_mul_lo_u16_e32 v17, 0x1b0, v17
	global_load_dwordx4 v[9:12], v9, s[12:13] offset:3328
	v_fmac_f32_e32 v38, v34, v19
	v_sub_u16_e32 v34, v13, v17
	v_lshlrev_b32_e32 v17, 4, v34
	global_load_dwordx4 v[17:20], v17, s[12:13] offset:3328
	s_waitcnt vmcnt(1)
	v_mul_f32_e32 v45, v7, v10
	v_mul_f32_e32 v10, v26, v10
	v_fma_f32 v45, v26, v9, -v45
	v_fmac_f32_e32 v10, v7, v9
	s_waitcnt lgkmcnt(1)
	v_mul_f32_e32 v7, v35, v12
	v_mul_f32_e32 v9, v39, v12
	v_fma_f32 v7, v39, v11, -v7
	v_fmac_f32_e32 v9, v35, v11
	s_waitcnt vmcnt(0)
	v_mul_f32_e32 v11, v24, v18
	v_mul_f32_e32 v12, v27, v18
	ds_read_b32 v26, v15
	ds_read_b32 v35, v15 offset:1296
	ds_read_b32 v39, v15 offset:2592
	v_fma_f32 v11, v27, v17, -v11
	v_fmac_f32_e32 v12, v24, v17
	s_waitcnt lgkmcnt(3)
	v_mul_f32_e32 v17, v41, v20
	v_mul_f32_e32 v18, v40, v20
	v_add_f32_e32 v20, v42, v30
	v_fma_f32 v17, v40, v19, -v17
	v_fmac_f32_e32 v18, v41, v19
	v_add_f32_e32 v19, v22, v42
	v_fmac_f32_e32 v22, -0.5, v20
	v_sub_f32_e32 v20, v31, v37
	v_mov_b32_e32 v24, v22
	v_fmac_f32_e32 v24, 0x3f5db3d7, v20
	v_fmac_f32_e32 v22, 0xbf5db3d7, v20
	s_waitcnt lgkmcnt(2)
	v_add_f32_e32 v20, v26, v31
	v_add_f32_e32 v27, v20, v37
	;; [unrolled: 1-line block ×3, first 2 shown]
	v_fmac_f32_e32 v26, -0.5, v20
	v_add_f32_e32 v19, v19, v30
	v_sub_f32_e32 v20, v42, v30
	v_mov_b32_e32 v30, v26
	v_add_f32_e32 v31, v33, v44
	v_fmac_f32_e32 v30, 0xbf5db3d7, v20
	v_fmac_f32_e32 v26, 0x3f5db3d7, v20
	v_add_f32_e32 v20, v23, v33
	v_fmac_f32_e32 v23, -0.5, v31
	v_sub_f32_e32 v31, v28, v38
	v_mov_b32_e32 v37, v23
	v_fmac_f32_e32 v37, 0x3f5db3d7, v31
	v_fmac_f32_e32 v23, 0xbf5db3d7, v31
	s_waitcnt lgkmcnt(1)
	v_add_f32_e32 v31, v35, v28
	v_add_f32_e32 v28, v28, v38
	v_fmac_f32_e32 v35, -0.5, v28
	v_add_f32_e32 v31, v31, v38
	v_sub_f32_e32 v28, v33, v44
	v_mov_b32_e32 v33, v35
	v_add_f32_e32 v38, v45, v7
	v_fmac_f32_e32 v33, 0xbf5db3d7, v28
	v_fmac_f32_e32 v35, 0x3f5db3d7, v28
	v_add_f32_e32 v28, v25, v45
	v_fmac_f32_e32 v25, -0.5, v38
	v_sub_f32_e32 v38, v10, v9
	v_mov_b32_e32 v40, v25
	v_fmac_f32_e32 v40, 0x3f5db3d7, v38
	v_fmac_f32_e32 v25, 0xbf5db3d7, v38
	s_waitcnt lgkmcnt(0)
	v_add_f32_e32 v38, v39, v10
	v_add_f32_e32 v38, v38, v9
	;; [unrolled: 1-line block ×3, first 2 shown]
	v_fmac_f32_e32 v39, -0.5, v9
	v_add_f32_e32 v28, v28, v7
	v_sub_f32_e32 v7, v45, v7
	v_mov_b32_e32 v41, v39
	v_add_f32_e32 v9, v11, v17
	v_fmac_f32_e32 v41, 0xbf5db3d7, v7
	v_fmac_f32_e32 v39, 0x3f5db3d7, v7
	v_add_f32_e32 v7, v36, v11
	v_fmac_f32_e32 v36, -0.5, v9
	v_sub_f32_e32 v9, v12, v18
	v_mov_b32_e32 v10, v36
	v_fmac_f32_e32 v10, 0x3f5db3d7, v9
	v_fmac_f32_e32 v36, 0xbf5db3d7, v9
	v_add_f32_e32 v9, v32, v12
	v_add_f32_e32 v42, v9, v18
	;; [unrolled: 1-line block ×3, first 2 shown]
	v_fmac_f32_e32 v32, -0.5, v9
	v_add_f32_e32 v20, v20, v44
	v_sub_f32_e32 v9, v11, v17
	v_mov_b32_e32 v44, v32
	v_fmac_f32_e32 v44, 0xbf5db3d7, v9
	v_fmac_f32_e32 v32, 0x3f5db3d7, v9
	v_mov_b32_e32 v9, 0x1440
	v_cndmask_b32_e64 v9, 0, v9, s[0:1]
	v_lshlrev_b32_e32 v11, 2, v21
	v_add3_u32 v45, 0, v9, v11
	v_mul_u32_u24_e32 v9, 0x1440, v29
	v_lshlrev_b32_e32 v11, 2, v43
	v_add3_u32 v29, 0, v9, v11
	v_add_f32_e32 v7, v7, v17
	s_barrier
	ds_write_b32 v15, v19
	ds_write_b32 v15, v24 offset:1728
	ds_write_b32 v15, v22 offset:3456
	ds_write_b32 v45, v20
	ds_write_b32 v45, v37 offset:1728
	ds_write_b32 v45, v23 offset:3456
	;; [unrolled: 3-line block ×3, first 2 shown]
	v_lshl_add_u32 v25, v34, 2, 0
	ds_write_b32 v25, v7 offset:10368
	ds_write_b32 v25, v10 offset:12096
	;; [unrolled: 1-line block ×3, first 2 shown]
	s_waitcnt lgkmcnt(0)
	s_barrier
	ds_read_b32 v17, v15
	ds_read_b32 v19, v15 offset:1296
	ds_read_b32 v23, v15 offset:2592
	;; [unrolled: 1-line block ×11, first 2 shown]
	s_waitcnt lgkmcnt(0)
	s_barrier
	ds_write_b32 v15, v27
	ds_write_b32 v15, v30 offset:1728
	ds_write_b32 v15, v26 offset:3456
	ds_write_b32 v45, v31
	ds_write_b32 v45, v33 offset:1728
	ds_write_b32 v45, v35 offset:3456
	;; [unrolled: 3-line block ×3, first 2 shown]
	ds_write_b32 v25, v42 offset:10368
	ds_write_b32 v25, v44 offset:12096
	;; [unrolled: 1-line block ×3, first 2 shown]
	s_waitcnt lgkmcnt(0)
	s_barrier
	s_and_saveexec_b64 s[0:1], vcc
	s_cbranch_execz .LBB0_17
; %bb.16:
	v_lshlrev_b32_e32 v7, 1, v13
	v_lshlrev_b64 v[25:26], 3, v[7:8]
	v_mov_b32_e32 v33, s13
	v_add_co_u32_e32 v7, vcc, s12, v25
	v_addc_co_u32_e32 v26, vcc, v33, v26, vcc
	v_add_co_u32_e32 v25, vcc, 0x2000, v7
	v_lshlrev_b32_e32 v7, 1, v14
	v_lshlrev_b64 v[29:30], 3, v[7:8]
	v_addc_co_u32_e32 v26, vcc, 0, v26, vcc
	v_add_co_u32_e32 v7, vcc, s12, v29
	global_load_dwordx4 v[25:28], v[25:26], off offset:2048
	s_movk_i32 s4, 0x2000
	v_addc_co_u32_e32 v30, vcc, v33, v30, vcc
	v_add_co_u32_e32 v29, vcc, s4, v7
	v_lshlrev_b32_e32 v7, 1, v16
	v_addc_co_u32_e32 v30, vcc, 0, v30, vcc
	v_lshlrev_b64 v[7:8], 3, v[7:8]
	global_load_dwordx4 v[29:32], v[29:30], off offset:2048
	v_add_co_u32_e32 v7, vcc, s12, v7
	v_addc_co_u32_e32 v8, vcc, v33, v8, vcc
	v_add_co_u32_e32 v7, vcc, s4, v7
	v_addc_co_u32_e32 v8, vcc, 0, v8, vcc
	global_load_dwordx4 v[33:36], v[7:8], off offset:2048
	v_mul_lo_u32 v7, s3, v3
	v_mad_u64_u32 v[41:42], s[0:1], s2, v3, 0
	v_add_co_u32_e32 v3, vcc, s4, v5
	v_mul_lo_u32 v8, s2, v4
	v_addc_co_u32_e32 v4, vcc, 0, v6, vcc
	ds_read_b32 v43, v15 offset:9072
	ds_read_b32 v44, v15 offset:14256
	ds_read_b32 v45, v15 offset:12960
	global_load_dwordx4 v[37:40], v[3:4], off offset:2048
	ds_read_b32 v3, v15 offset:7776
	v_add3_u32 v42, v42, v8, v7
	v_lshlrev_b64 v[1:2], 3, v[1:2]
	s_mov_b32 s3, 0xca4587e7
	s_movk_i32 s2, 0xa20
	s_waitcnt vmcnt(3) lgkmcnt(3)
	v_mul_f32_e32 v4, v26, v43
	v_mul_f32_e32 v5, v25, v43
	v_fma_f32 v4, v12, v25, -v4
	v_fmac_f32_e32 v5, v12, v26
	s_waitcnt lgkmcnt(2)
	v_mul_f32_e32 v6, v28, v44
	v_mul_f32_e32 v12, v27, v44
	v_fma_f32 v25, v24, v27, -v6
	v_fmac_f32_e32 v12, v24, v28
	ds_read_b32 v26, v15 offset:6480
	ds_read_b32 v43, v15 offset:5184
	;; [unrolled: 1-line block ×5, first 2 shown]
	v_add_f32_e32 v8, v4, v25
	s_waitcnt vmcnt(2) lgkmcnt(5)
	v_mul_f32_e32 v7, v30, v3
	v_mul_f32_e32 v28, v29, v3
	;; [unrolled: 1-line block ×3, first 2 shown]
	v_fma_f32 v29, v10, v29, -v7
	v_fmac_f32_e32 v28, v10, v30
	ds_read_b32 v30, v15 offset:11664
	v_mul_f32_e32 v44, v31, v45
	v_fma_f32 v31, v11, v31, -v3
	v_fmac_f32_e32 v44, v11, v32
	s_waitcnt lgkmcnt(3)
	v_add_f32_e32 v11, v5, v6
	v_add_f32_e32 v45, v29, v31
	v_sub_f32_e32 v3, v4, v25
	v_add_f32_e32 v7, v5, v12
	v_sub_f32_e32 v10, v5, v12
	v_add_f32_e32 v4, v9, v4
	v_fma_f32 v5, -0.5, v8, v9
	v_add_f32_e32 v9, v28, v44
	v_add_f32_e32 v8, v12, v11
	v_fma_f32 v11, -0.5, v45, v23
	v_fma_f32 v6, -0.5, v7, v6
	v_add_f32_e32 v7, v4, v25
	s_waitcnt lgkmcnt(2)
	v_fma_f32 v12, -0.5, v9, v24
	v_sub_f32_e32 v25, v28, v44
	v_mov_b32_e32 v9, v11
	v_mov_b32_e32 v4, v6
	v_fmac_f32_e32 v9, 0xbf5db3d7, v25
	v_fmac_f32_e32 v11, 0x3f5db3d7, v25
	v_add_f32_e32 v23, v23, v29
	s_waitcnt vmcnt(1)
	v_mul_f32_e32 v25, v34, v26
	v_sub_f32_e32 v32, v29, v31
	v_fmac_f32_e32 v6, 0xbf5db3d7, v3
	v_fmac_f32_e32 v4, 0x3f5db3d7, v3
	v_mov_b32_e32 v3, v5
	v_add_f32_e32 v23, v23, v31
	ds_read_b32 v31, v15 offset:10368
	v_fma_f32 v29, v21, v33, -v25
	s_waitcnt lgkmcnt(1)
	v_mul_f32_e32 v25, v36, v30
	v_mul_f32_e32 v33, v33, v26
	;; [unrolled: 1-line block ×3, first 2 shown]
	v_fmac_f32_e32 v5, 0x3f5db3d7, v10
	v_fmac_f32_e32 v3, 0xbf5db3d7, v10
	v_mov_b32_e32 v10, v12
	v_fmac_f32_e32 v33, v21, v34
	v_fmac_f32_e32 v30, v22, v36
	;; [unrolled: 1-line block ×4, first 2 shown]
	v_fma_f32 v32, v22, v35, -v25
	v_add_f32_e32 v21, v33, v30
	v_fma_f32 v22, -0.5, v21, v27
	v_add_f32_e32 v21, v29, v32
	v_fma_f32 v21, -0.5, v21, v19
	v_add_f32_e32 v24, v28, v24
	v_sub_f32_e32 v28, v29, v32
	ds_read_b32 v15, v15
	v_mov_b32_e32 v26, v22
	v_sub_f32_e32 v34, v33, v30
	v_mov_b32_e32 v25, v21
	v_add_f32_e32 v27, v33, v27
	v_add_f32_e32 v19, v19, v29
	v_fmac_f32_e32 v26, 0x3f5db3d7, v28
	v_fmac_f32_e32 v25, 0xbf5db3d7, v34
	;; [unrolled: 1-line block ×4, first 2 shown]
	v_add_f32_e32 v28, v30, v27
	v_add_f32_e32 v27, v19, v32
	s_waitcnt vmcnt(0)
	v_mul_f32_e32 v19, v38, v43
	v_mul_f32_e32 v34, v37, v43
	v_fma_f32 v35, v20, v37, -v19
	s_waitcnt lgkmcnt(1)
	v_mul_f32_e32 v19, v40, v31
	v_fmac_f32_e32 v34, v20, v38
	v_mul_f32_e32 v20, v39, v31
	v_mad_u64_u32 v[31:32], s[0:1], s20, v0, 0
	v_fmac_f32_e32 v20, v18, v40
	v_fma_f32 v36, v18, v39, -v19
	v_add_f32_e32 v18, v34, v20
	s_waitcnt lgkmcnt(0)
	v_fma_f32 v19, -0.5, v18, v15
	v_sub_f32_e32 v33, v35, v36
	v_mov_b32_e32 v30, v19
	v_sub_f32_e32 v37, v34, v20
	v_add_f32_e32 v34, v34, v15
	v_mov_b32_e32 v15, v32
	v_fmac_f32_e32 v30, 0x3f5db3d7, v33
	v_fmac_f32_e32 v19, 0xbf5db3d7, v33
	v_mad_u64_u32 v[32:33], s[0:1], s21, v0, v[15:16]
	v_add_f32_e32 v15, v17, v35
	v_add_f32_e32 v18, v35, v36
	;; [unrolled: 1-line block ×3, first 2 shown]
	v_lshlrev_b64 v[35:36], 3, v[41:42]
	v_fma_f32 v18, -0.5, v18, v17
	v_mov_b32_e32 v15, s11
	v_add_co_u32_e32 v17, vcc, s10, v35
	v_addc_co_u32_e32 v15, vcc, v15, v36, vcc
	v_add_co_u32_e32 v38, vcc, v17, v1
	v_add_u32_e32 v17, 0x510, v0
	v_addc_co_u32_e32 v39, vcc, v15, v2, vcc
	v_lshlrev_b64 v[1:2], 3, v[31:32]
	v_mad_u64_u32 v[31:32], s[0:1], s20, v17, 0
	v_mov_b32_e32 v29, v18
	v_add_co_u32_e32 v1, vcc, v38, v1
	v_mov_b32_e32 v15, v32
	v_mad_u64_u32 v[35:36], s[0:1], s21, v17, v[15:16]
	v_add_u32_e32 v17, 0xa20, v0
	v_fmac_f32_e32 v29, 0xbf5db3d7, v37
	v_fmac_f32_e32 v18, 0x3f5db3d7, v37
	v_add_f32_e32 v34, v20, v34
	v_addc_co_u32_e32 v2, vcc, v39, v2, vcc
	v_mad_u64_u32 v[36:37], s[0:1], s20, v17, 0
	v_mov_b32_e32 v32, v35
	global_store_dwordx2 v[1:2], v[33:34], off
	v_lshlrev_b64 v[1:2], 3, v[31:32]
	v_mov_b32_e32 v15, v37
	v_add_co_u32_e32 v1, vcc, v38, v1
	v_addc_co_u32_e32 v2, vcc, v39, v2, vcc
	v_mad_u64_u32 v[31:32], s[0:1], s21, v17, v[15:16]
	global_store_dwordx2 v[1:2], v[18:19], off
	v_mad_u64_u32 v[17:18], s[0:1], s20, v16, 0
	v_mov_b32_e32 v37, v31
	v_lshlrev_b64 v[1:2], 3, v[36:37]
	v_mov_b32_e32 v15, v18
	v_mad_u64_u32 v[15:16], s[0:1], s21, v16, v[15:16]
	v_add_u32_e32 v16, 0x654, v0
	v_mad_u64_u32 v[19:20], s[0:1], s20, v16, 0
	v_add_co_u32_e32 v1, vcc, v38, v1
	v_mov_b32_e32 v18, v15
	v_mov_b32_e32 v15, v20
	v_addc_co_u32_e32 v2, vcc, v39, v2, vcc
	v_mad_u64_u32 v[15:16], s[0:1], s21, v16, v[15:16]
	global_store_dwordx2 v[1:2], v[29:30], off
	v_lshlrev_b64 v[1:2], 3, v[17:18]
	v_add_u32_e32 v17, 0xb64, v0
	v_add_co_u32_e32 v1, vcc, v38, v1
	v_addc_co_u32_e32 v2, vcc, v39, v2, vcc
	v_mov_b32_e32 v20, v15
	v_mad_u64_u32 v[15:16], s[0:1], s20, v17, 0
	global_store_dwordx2 v[1:2], v[27:28], off
	v_lshlrev_b64 v[1:2], 3, v[19:20]
	v_add_f32_e32 v24, v44, v24
	v_add_co_u32_e32 v0, vcc, v38, v1
	v_addc_co_u32_e32 v1, vcc, v39, v2, vcc
	v_mov_b32_e32 v2, v16
	v_mad_u64_u32 v[16:17], s[0:1], s21, v17, v[2:3]
	v_mul_hi_u32 v2, v14, s3
	global_store_dwordx2 v[0:1], v[21:22], off
	v_lshlrev_b64 v[0:1], 3, v[15:16]
	v_lshrrev_b32_e32 v2, 10, v2
	v_mad_u32_u24 v18, v2, s2, v14
	v_mad_u64_u32 v[14:15], s[0:1], s20, v18, 0
	v_add_u32_e32 v19, 0x510, v18
	v_add_co_u32_e32 v0, vcc, v38, v0
	v_mov_b32_e32 v2, v15
	v_mad_u64_u32 v[15:16], s[0:1], s21, v18, v[2:3]
	v_mad_u64_u32 v[16:17], s[0:1], s20, v19, 0
	v_addc_co_u32_e32 v1, vcc, v39, v1, vcc
	v_mov_b32_e32 v2, v17
	global_store_dwordx2 v[0:1], v[25:26], off
	v_lshlrev_b64 v[0:1], 3, v[14:15]
	v_mad_u64_u32 v[14:15], s[0:1], s21, v19, v[2:3]
	v_add_co_u32_e32 v0, vcc, v38, v0
	v_addc_co_u32_e32 v1, vcc, v39, v1, vcc
	v_mov_b32_e32 v17, v14
	global_store_dwordx2 v[0:1], v[23:24], off
	v_lshlrev_b64 v[0:1], 3, v[16:17]
	v_add_u32_e32 v16, 0xa20, v18
	v_mad_u64_u32 v[14:15], s[0:1], s20, v16, 0
	v_mul_hi_u32 v17, v13, s3
	v_add_co_u32_e32 v0, vcc, v38, v0
	v_mov_b32_e32 v2, v15
	v_mad_u64_u32 v[15:16], s[0:1], s21, v16, v[2:3]
	v_lshrrev_b32_e32 v2, 10, v17
	v_mad_u32_u24 v13, v2, s2, v13
	v_mad_u64_u32 v[16:17], s[0:1], s20, v13, 0
	v_addc_co_u32_e32 v1, vcc, v39, v1, vcc
	v_mov_b32_e32 v2, v17
	global_store_dwordx2 v[0:1], v[11:12], off
	v_mad_u64_u32 v[11:12], s[0:1], s21, v13, v[2:3]
	v_lshlrev_b64 v[0:1], 3, v[14:15]
	v_add_co_u32_e32 v0, vcc, v38, v0
	v_addc_co_u32_e32 v1, vcc, v39, v1, vcc
	v_mov_b32_e32 v17, v11
	v_add_u32_e32 v11, 0x510, v13
	global_store_dwordx2 v[0:1], v[9:10], off
	v_mad_u64_u32 v[9:10], s[0:1], s20, v11, 0
	v_add_u32_e32 v13, 0xa20, v13
	v_lshlrev_b64 v[0:1], 3, v[16:17]
	v_mov_b32_e32 v2, v10
	v_mad_u64_u32 v[10:11], s[0:1], s21, v11, v[2:3]
	v_mad_u64_u32 v[11:12], s[0:1], s20, v13, 0
	v_add_co_u32_e32 v0, vcc, v38, v0
	v_addc_co_u32_e32 v1, vcc, v39, v1, vcc
	v_mov_b32_e32 v2, v12
	global_store_dwordx2 v[0:1], v[7:8], off
	v_mad_u64_u32 v[7:8], s[0:1], s21, v13, v[2:3]
	v_lshlrev_b64 v[0:1], 3, v[9:10]
	v_add_co_u32_e32 v0, vcc, v38, v0
	v_addc_co_u32_e32 v1, vcc, v39, v1, vcc
	v_mov_b32_e32 v12, v7
	global_store_dwordx2 v[0:1], v[5:6], off
	v_lshlrev_b64 v[0:1], 3, v[11:12]
	v_add_co_u32_e32 v0, vcc, v38, v0
	v_addc_co_u32_e32 v1, vcc, v39, v1, vcc
	global_store_dwordx2 v[0:1], v[3:4], off
.LBB0_17:
	s_endpgm
	.section	.rodata,"a",@progbits
	.p2align	6, 0x0
	.amdhsa_kernel fft_rtc_fwd_len3888_factors_16_3_3_3_3_3_wgs_324_tpt_324_halfLds_sp_op_CI_CI_sbrr_dirReg
		.amdhsa_group_segment_fixed_size 0
		.amdhsa_private_segment_fixed_size 0
		.amdhsa_kernarg_size 104
		.amdhsa_user_sgpr_count 6
		.amdhsa_user_sgpr_private_segment_buffer 1
		.amdhsa_user_sgpr_dispatch_ptr 0
		.amdhsa_user_sgpr_queue_ptr 0
		.amdhsa_user_sgpr_kernarg_segment_ptr 1
		.amdhsa_user_sgpr_dispatch_id 0
		.amdhsa_user_sgpr_flat_scratch_init 0
		.amdhsa_user_sgpr_private_segment_size 0
		.amdhsa_uses_dynamic_stack 0
		.amdhsa_system_sgpr_private_segment_wavefront_offset 0
		.amdhsa_system_sgpr_workgroup_id_x 1
		.amdhsa_system_sgpr_workgroup_id_y 0
		.amdhsa_system_sgpr_workgroup_id_z 0
		.amdhsa_system_sgpr_workgroup_info 0
		.amdhsa_system_vgpr_workitem_id 0
		.amdhsa_next_free_vgpr 63
		.amdhsa_next_free_sgpr 32
		.amdhsa_reserve_vcc 1
		.amdhsa_reserve_flat_scratch 0
		.amdhsa_float_round_mode_32 0
		.amdhsa_float_round_mode_16_64 0
		.amdhsa_float_denorm_mode_32 3
		.amdhsa_float_denorm_mode_16_64 3
		.amdhsa_dx10_clamp 1
		.amdhsa_ieee_mode 1
		.amdhsa_fp16_overflow 0
		.amdhsa_exception_fp_ieee_invalid_op 0
		.amdhsa_exception_fp_denorm_src 0
		.amdhsa_exception_fp_ieee_div_zero 0
		.amdhsa_exception_fp_ieee_overflow 0
		.amdhsa_exception_fp_ieee_underflow 0
		.amdhsa_exception_fp_ieee_inexact 0
		.amdhsa_exception_int_div_zero 0
	.end_amdhsa_kernel
	.text
.Lfunc_end0:
	.size	fft_rtc_fwd_len3888_factors_16_3_3_3_3_3_wgs_324_tpt_324_halfLds_sp_op_CI_CI_sbrr_dirReg, .Lfunc_end0-fft_rtc_fwd_len3888_factors_16_3_3_3_3_3_wgs_324_tpt_324_halfLds_sp_op_CI_CI_sbrr_dirReg
                                        ; -- End function
	.section	.AMDGPU.csdata,"",@progbits
; Kernel info:
; codeLenInByte = 9596
; NumSgprs: 36
; NumVgprs: 63
; ScratchSize: 0
; MemoryBound: 0
; FloatMode: 240
; IeeeMode: 1
; LDSByteSize: 0 bytes/workgroup (compile time only)
; SGPRBlocks: 4
; VGPRBlocks: 15
; NumSGPRsForWavesPerEU: 36
; NumVGPRsForWavesPerEU: 63
; Occupancy: 4
; WaveLimiterHint : 1
; COMPUTE_PGM_RSRC2:SCRATCH_EN: 0
; COMPUTE_PGM_RSRC2:USER_SGPR: 6
; COMPUTE_PGM_RSRC2:TRAP_HANDLER: 0
; COMPUTE_PGM_RSRC2:TGID_X_EN: 1
; COMPUTE_PGM_RSRC2:TGID_Y_EN: 0
; COMPUTE_PGM_RSRC2:TGID_Z_EN: 0
; COMPUTE_PGM_RSRC2:TIDIG_COMP_CNT: 0
	.type	__hip_cuid_edb2a573c7fe316a,@object ; @__hip_cuid_edb2a573c7fe316a
	.section	.bss,"aw",@nobits
	.globl	__hip_cuid_edb2a573c7fe316a
__hip_cuid_edb2a573c7fe316a:
	.byte	0                               ; 0x0
	.size	__hip_cuid_edb2a573c7fe316a, 1

	.ident	"AMD clang version 19.0.0git (https://github.com/RadeonOpenCompute/llvm-project roc-6.4.0 25133 c7fe45cf4b819c5991fe208aaa96edf142730f1d)"
	.section	".note.GNU-stack","",@progbits
	.addrsig
	.addrsig_sym __hip_cuid_edb2a573c7fe316a
	.amdgpu_metadata
---
amdhsa.kernels:
  - .args:
      - .actual_access:  read_only
        .address_space:  global
        .offset:         0
        .size:           8
        .value_kind:     global_buffer
      - .offset:         8
        .size:           8
        .value_kind:     by_value
      - .actual_access:  read_only
        .address_space:  global
        .offset:         16
        .size:           8
        .value_kind:     global_buffer
      - .actual_access:  read_only
        .address_space:  global
        .offset:         24
        .size:           8
        .value_kind:     global_buffer
      - .actual_access:  read_only
        .address_space:  global
        .offset:         32
        .size:           8
        .value_kind:     global_buffer
      - .offset:         40
        .size:           8
        .value_kind:     by_value
      - .actual_access:  read_only
        .address_space:  global
        .offset:         48
        .size:           8
        .value_kind:     global_buffer
      - .actual_access:  read_only
        .address_space:  global
        .offset:         56
        .size:           8
        .value_kind:     global_buffer
      - .offset:         64
        .size:           4
        .value_kind:     by_value
      - .actual_access:  read_only
        .address_space:  global
        .offset:         72
        .size:           8
        .value_kind:     global_buffer
      - .actual_access:  read_only
        .address_space:  global
        .offset:         80
        .size:           8
        .value_kind:     global_buffer
      - .actual_access:  read_only
        .address_space:  global
        .offset:         88
        .size:           8
        .value_kind:     global_buffer
      - .actual_access:  write_only
        .address_space:  global
        .offset:         96
        .size:           8
        .value_kind:     global_buffer
    .group_segment_fixed_size: 0
    .kernarg_segment_align: 8
    .kernarg_segment_size: 104
    .language:       OpenCL C
    .language_version:
      - 2
      - 0
    .max_flat_workgroup_size: 324
    .name:           fft_rtc_fwd_len3888_factors_16_3_3_3_3_3_wgs_324_tpt_324_halfLds_sp_op_CI_CI_sbrr_dirReg
    .private_segment_fixed_size: 0
    .sgpr_count:     36
    .sgpr_spill_count: 0
    .symbol:         fft_rtc_fwd_len3888_factors_16_3_3_3_3_3_wgs_324_tpt_324_halfLds_sp_op_CI_CI_sbrr_dirReg.kd
    .uniform_work_group_size: 1
    .uses_dynamic_stack: false
    .vgpr_count:     63
    .vgpr_spill_count: 0
    .wavefront_size: 64
amdhsa.target:   amdgcn-amd-amdhsa--gfx906
amdhsa.version:
  - 1
  - 2
...

	.end_amdgpu_metadata
